;; amdgpu-corpus repo=ROCm/rocFFT kind=compiled arch=gfx906 opt=O3
	.text
	.amdgcn_target "amdgcn-amd-amdhsa--gfx906"
	.amdhsa_code_object_version 6
	.protected	fft_rtc_fwd_len192_factors_2_2_3_4_4_wgs_192_tpt_12_dim3_sp_ip_CI_sbrr_dirReg ; -- Begin function fft_rtc_fwd_len192_factors_2_2_3_4_4_wgs_192_tpt_12_dim3_sp_ip_CI_sbrr_dirReg
	.globl	fft_rtc_fwd_len192_factors_2_2_3_4_4_wgs_192_tpt_12_dim3_sp_ip_CI_sbrr_dirReg
	.p2align	8
	.type	fft_rtc_fwd_len192_factors_2_2_3_4_4_wgs_192_tpt_12_dim3_sp_ip_CI_sbrr_dirReg,@function
fft_rtc_fwd_len192_factors_2_2_3_4_4_wgs_192_tpt_12_dim3_sp_ip_CI_sbrr_dirReg: ; @fft_rtc_fwd_len192_factors_2_2_3_4_4_wgs_192_tpt_12_dim3_sp_ip_CI_sbrr_dirReg
; %bb.0:
	s_load_dwordx4 s[0:3], s[4:5], 0x8
	v_mul_u32_u24_e32 v1, 0x1556, v0
	v_lshrrev_b32_e32 v34, 16, v1
	v_mov_b32_e32 v1, 0
	v_lshl_add_u32 v3, s6, 4, v34
	s_waitcnt lgkmcnt(0)
	s_load_dwordx2 s[8:9], s[0:1], 0x8
	v_mov_b32_e32 v4, 0
	v_mov_b32_e32 v2, 0
	v_mov_b32_e32 v6, v2
	v_mov_b32_e32 v5, v1
	s_waitcnt lgkmcnt(0)
	v_cmp_le_u64_e32 vcc, s[8:9], v[3:4]
	s_and_saveexec_b64 s[6:7], vcc
	s_cbranch_execz .LBB0_2
; %bb.1:
	v_cvt_f32_u32_e32 v5, s8
	s_sub_i32 s10, 0, s8
	v_rcp_iflag_f32_e32 v5, v5
	v_mul_f32_e32 v5, 0x4f7ffffe, v5
	v_cvt_u32_f32_e32 v5, v5
	v_mul_lo_u32 v6, s10, v5
	v_mul_hi_u32 v6, v5, v6
	v_add_u32_e32 v5, v5, v6
	v_mul_hi_u32 v5, v3, v5
	v_mul_lo_u32 v6, v5, s8
	v_add_u32_e32 v7, 1, v5
	v_sub_u32_e32 v6, v3, v6
	v_subrev_u32_e32 v8, s8, v6
	v_cmp_le_u32_e32 vcc, s8, v6
	v_cndmask_b32_e32 v6, v6, v8, vcc
	v_cndmask_b32_e32 v5, v5, v7, vcc
	v_add_u32_e32 v7, 1, v5
	v_cmp_le_u32_e32 vcc, s8, v6
	v_cndmask_b32_e32 v5, v5, v7, vcc
	v_mov_b32_e32 v6, v4
.LBB0_2:
	s_or_b64 exec, exec, s[6:7]
	s_load_dwordx2 s[6:7], s[0:1], 0x10
	s_load_dwordx2 s[10:11], s[2:3], 0x8
	s_waitcnt lgkmcnt(0)
	v_cmp_le_u64_e32 vcc, s[6:7], v[5:6]
	s_and_saveexec_b64 s[0:1], vcc
	s_cbranch_execz .LBB0_4
; %bb.3:
	v_cvt_f32_u32_e32 v1, s6
	s_sub_i32 s12, 0, s6
	v_rcp_iflag_f32_e32 v1, v1
	v_mul_f32_e32 v1, 0x4f7ffffe, v1
	v_cvt_u32_f32_e32 v1, v1
	v_mul_lo_u32 v2, s12, v1
	v_mul_hi_u32 v2, v1, v2
	v_add_u32_e32 v1, v1, v2
	v_mul_hi_u32 v1, v5, v1
	v_mul_lo_u32 v2, v1, s6
	v_add_u32_e32 v4, 1, v1
	v_sub_u32_e32 v2, v5, v2
	v_subrev_u32_e32 v7, s6, v2
	v_cmp_le_u32_e32 vcc, s6, v2
	v_cndmask_b32_e32 v2, v2, v7, vcc
	v_cndmask_b32_e32 v1, v1, v4, vcc
	v_add_u32_e32 v4, 1, v1
	v_cmp_le_u32_e32 vcc, s6, v2
	v_cndmask_b32_e32 v1, v1, v4, vcc
	v_mov_b32_e32 v2, 0
.LBB0_4:
	s_or_b64 exec, exec, s[0:1]
	v_mad_u64_u32 v[7:8], s[0:1], v5, s8, 0
	s_load_dwordx4 s[12:15], s[2:3], 0x10
                                        ; implicit-def: $vgpr50
                                        ; implicit-def: $vgpr51
                                        ; implicit-def: $vgpr52
                                        ; implicit-def: $vgpr63
                                        ; implicit-def: $vgpr37
                                        ; implicit-def: $vgpr35
                                        ; implicit-def: $vgpr36
	v_mov_b32_e32 v4, v8
	v_mad_u64_u32 v[8:9], s[0:1], v5, s9, v[4:5]
	v_sub_co_u32_e32 v7, vcc, v3, v7
	v_mov_b32_e32 v4, v8
	v_subb_co_u32_e32 v8, vcc, 0, v4, vcc
	v_mad_u64_u32 v[3:4], s[0:1], v1, s6, 0
	v_mul_lo_u32 v11, s11, v7
	v_mul_lo_u32 v12, s10, v8
	v_mad_u64_u32 v[9:10], s[0:1], v1, s7, v[4:5]
	v_mad_u64_u32 v[7:8], s[0:1], s10, v7, 0
	v_mov_b32_e32 v4, v9
	v_sub_co_u32_e32 v5, vcc, v5, v3
	v_add3_u32 v8, v8, v12, v11
	v_subb_co_u32_e32 v6, vcc, v6, v4, vcc
	s_waitcnt lgkmcnt(0)
	v_mad_u64_u32 v[3:4], s[0:1], s12, v5, v[7:8]
	v_mul_lo_u32 v6, s12, v6
	v_mul_lo_u32 v5, s13, v5
	s_load_dwordx2 s[10:11], s[4:5], 0x0
	v_add3_u32 v4, v5, v4, v6
	v_mad_u64_u32 v[3:4], s[0:1], s14, v1, v[3:4]
	s_load_dwordx2 s[8:9], s[4:5], 0x48
	s_load_dwordx2 s[0:1], s[4:5], 0x18
	;; [unrolled: 1-line block ×3, first 2 shown]
                                        ; implicit-def: $sgpr4_sgpr5
	v_mad_u64_u32 v[4:5], s[2:3], s15, v1, v[4:5]
	s_movk_i32 s2, 0x1556
	s_waitcnt lgkmcnt(0)
	v_cmp_gt_u64_e32 vcc, s[0:1], v[1:2]
	v_cmp_le_u64_e64 s[0:1], s[0:1], v[1:2]
	v_mul_u32_u24_sdwa v1, v0, s2 dst_sel:DWORD dst_unused:UNUSED_PAD src0_sel:WORD_0 src1_sel:DWORD
	v_mov_b32_e32 v2, 12
	v_mul_lo_u16_sdwa v1, v1, v2 dst_sel:DWORD dst_unused:UNUSED_PAD src0_sel:WORD_1 src1_sel:DWORD
	v_sub_u16_e32 v46, v0, v1
	v_add_u32_e32 v48, 12, v46
	v_add_u32_e32 v45, 24, v46
	;; [unrolled: 1-line block ×3, first 2 shown]
	v_or_b32_e32 v49, 48, v46
	v_add_u32_e32 v47, 60, v46
	s_and_saveexec_b64 s[2:3], s[0:1]
	s_xor_b64 s[0:1], exec, s[2:3]
; %bb.5:
	v_add_u32_e32 v50, 12, v46
	v_add_u32_e32 v51, 24, v46
	;; [unrolled: 1-line block ×3, first 2 shown]
	v_or_b32_e32 v63, 48, v46
	v_add_u32_e32 v37, 60, v46
	v_add_u32_e32 v35, 0x48, v46
	;; [unrolled: 1-line block ×3, first 2 shown]
	s_mov_b64 s[4:5], 0
; %bb.6:
	s_or_saveexec_b64 s[2:3], s[0:1]
	v_mov_b32_e32 v0, s4
	v_lshlrev_b64 v[24:25], 3, v[3:4]
	v_mov_b32_e32 v33, s5
	v_mov_b32_e32 v31, s5
	;; [unrolled: 1-line block ×15, first 2 shown]
                                        ; implicit-def: $vgpr9
                                        ; implicit-def: $vgpr7
                                        ; implicit-def: $vgpr5
                                        ; implicit-def: $vgpr3
                                        ; implicit-def: $vgpr15
                                        ; implicit-def: $vgpr11
                                        ; implicit-def: $vgpr13
                                        ; implicit-def: $vgpr17
	s_xor_b64 exec, exec, s[2:3]
	s_cbranch_execz .LBB0_8
; %bb.7:
	v_mad_u64_u32 v[0:1], s[0:1], s6, v46, 0
	v_or_b32_e32 v5, 0x60, v46
	v_mov_b32_e32 v4, s9
	v_mad_u64_u32 v[1:2], s[0:1], s7, v46, v[1:2]
	v_mad_u64_u32 v[2:3], s[0:1], s6, v5, 0
	v_add_co_u32_e64 v8, s[0:1], s8, v24
	v_addc_co_u32_e64 v9, s[0:1], v4, v25, s[0:1]
	v_mad_u64_u32 v[3:4], s[0:1], s7, v5, v[3:4]
	v_mad_u64_u32 v[4:5], s[0:1], s6, v48, 0
	v_lshlrev_b64 v[0:1], 3, v[0:1]
	v_add_u32_e32 v35, 0x48, v46
	v_add_co_u32_e64 v14, s[0:1], v8, v0
	v_addc_co_u32_e64 v15, s[0:1], v9, v1, s[0:1]
	v_lshlrev_b64 v[0:1], 3, v[2:3]
	v_mov_b32_e32 v2, v5
	v_mad_u64_u32 v[2:3], s[0:1], s7, v48, v[2:3]
	v_add_u32_e32 v3, 0x6c, v46
	v_mad_u64_u32 v[6:7], s[0:1], s6, v3, 0
	v_add_co_u32_e64 v37, s[0:1], v8, v0
	v_mov_b32_e32 v5, v2
	v_mov_b32_e32 v2, v7
	v_addc_co_u32_e64 v38, s[0:1], v9, v1, s[0:1]
	v_mad_u64_u32 v[2:3], s[0:1], s7, v3, v[2:3]
	v_lshlrev_b64 v[0:1], 3, v[4:5]
	v_mad_u64_u32 v[3:4], s[0:1], s6, v45, 0
	v_add_co_u32_e64 v39, s[0:1], v8, v0
	v_mov_b32_e32 v7, v2
	v_mov_b32_e32 v2, v4
	v_addc_co_u32_e64 v40, s[0:1], v9, v1, s[0:1]
	v_lshlrev_b64 v[0:1], 3, v[6:7]
	v_mad_u64_u32 v[4:5], s[0:1], s7, v45, v[2:3]
	v_add_u32_e32 v7, 0x78, v46
	v_mad_u64_u32 v[5:6], s[0:1], s6, v7, 0
	v_add_co_u32_e64 v41, s[0:1], v8, v0
	v_mov_b32_e32 v2, v6
	v_addc_co_u32_e64 v42, s[0:1], v9, v1, s[0:1]
	v_lshlrev_b64 v[0:1], 3, v[3:4]
	v_mad_u64_u32 v[2:3], s[0:1], s7, v7, v[2:3]
	v_mad_u64_u32 v[3:4], s[0:1], s6, v44, 0
	v_add_co_u32_e64 v50, s[0:1], v8, v0
	v_mov_b32_e32 v6, v2
	v_mov_b32_e32 v2, v4
	v_addc_co_u32_e64 v51, s[0:1], v9, v1, s[0:1]
	v_lshlrev_b64 v[0:1], 3, v[5:6]
	v_mad_u64_u32 v[4:5], s[0:1], s7, v44, v[2:3]
	v_add_u32_e32 v7, 0x84, v46
	v_mad_u64_u32 v[5:6], s[0:1], s6, v7, 0
	v_add_co_u32_e64 v52, s[0:1], v8, v0
	v_mov_b32_e32 v2, v6
	v_addc_co_u32_e64 v53, s[0:1], v9, v1, s[0:1]
	v_lshlrev_b64 v[0:1], 3, v[3:4]
	v_mad_u64_u32 v[2:3], s[0:1], s7, v7, v[2:3]
	v_mad_u64_u32 v[3:4], s[0:1], s6, v49, 0
	v_add_co_u32_e64 v54, s[0:1], v8, v0
	v_mov_b32_e32 v6, v2
	v_mov_b32_e32 v2, v4
	v_addc_co_u32_e64 v55, s[0:1], v9, v1, s[0:1]
	v_lshlrev_b64 v[0:1], 3, v[5:6]
	v_mad_u64_u32 v[4:5], s[0:1], s7, v49, v[2:3]
	v_or_b32_e32 v7, 0x90, v46
	v_mad_u64_u32 v[5:6], s[0:1], s6, v7, 0
	v_add_co_u32_e64 v56, s[0:1], v8, v0
	v_mov_b32_e32 v2, v6
	v_addc_co_u32_e64 v57, s[0:1], v9, v1, s[0:1]
	v_lshlrev_b64 v[0:1], 3, v[3:4]
	v_mad_u64_u32 v[2:3], s[0:1], s7, v7, v[2:3]
	v_mad_u64_u32 v[3:4], s[0:1], s6, v47, 0
	v_add_co_u32_e64 v58, s[0:1], v8, v0
	v_mov_b32_e32 v6, v2
	v_mov_b32_e32 v2, v4
	v_addc_co_u32_e64 v59, s[0:1], v9, v1, s[0:1]
	v_lshlrev_b64 v[0:1], 3, v[5:6]
	v_mad_u64_u32 v[4:5], s[0:1], s7, v47, v[2:3]
	v_add_u32_e32 v7, 0x9c, v46
	v_mad_u64_u32 v[5:6], s[0:1], s6, v7, 0
	v_add_co_u32_e64 v60, s[0:1], v8, v0
	v_mov_b32_e32 v2, v6
	v_addc_co_u32_e64 v61, s[0:1], v9, v1, s[0:1]
	v_lshlrev_b64 v[0:1], 3, v[3:4]
	v_mad_u64_u32 v[2:3], s[0:1], s7, v7, v[2:3]
	v_mad_u64_u32 v[3:4], s[0:1], s6, v35, 0
	v_add_co_u32_e64 v62, s[0:1], v8, v0
	v_mov_b32_e32 v6, v2
	v_mov_b32_e32 v2, v4
	v_addc_co_u32_e64 v63, s[0:1], v9, v1, s[0:1]
	v_lshlrev_b64 v[0:1], 3, v[5:6]
	v_mad_u64_u32 v[4:5], s[0:1], s7, v35, v[2:3]
	v_add_u32_e32 v7, 0xa8, v46
	v_mad_u64_u32 v[5:6], s[0:1], s6, v7, 0
	v_add_co_u32_e64 v64, s[0:1], v8, v0
	v_mov_b32_e32 v2, v6
	v_addc_co_u32_e64 v65, s[0:1], v9, v1, s[0:1]
	v_lshlrev_b64 v[0:1], 3, v[3:4]
	v_mad_u64_u32 v[2:3], s[0:1], s7, v7, v[2:3]
	v_add_u32_e32 v36, 0x54, v46
	v_mad_u64_u32 v[3:4], s[0:1], s6, v36, 0
	v_add_co_u32_e64 v66, s[0:1], v8, v0
	v_mov_b32_e32 v6, v2
	v_mov_b32_e32 v2, v4
	v_addc_co_u32_e64 v67, s[0:1], v9, v1, s[0:1]
	v_lshlrev_b64 v[0:1], 3, v[5:6]
	v_mad_u64_u32 v[4:5], s[0:1], s7, v36, v[2:3]
	v_add_u32_e32 v7, 0xb4, v46
	v_mad_u64_u32 v[5:6], s[0:1], s6, v7, 0
	v_add_co_u32_e64 v68, s[0:1], v8, v0
	v_mov_b32_e32 v2, v6
	v_addc_co_u32_e64 v69, s[0:1], v9, v1, s[0:1]
	v_lshlrev_b64 v[0:1], 3, v[3:4]
	v_mad_u64_u32 v[2:3], s[0:1], s7, v7, v[2:3]
	v_add_co_u32_e64 v70, s[0:1], v8, v0
	v_mov_b32_e32 v6, v2
	v_addc_co_u32_e64 v71, s[0:1], v9, v1, s[0:1]
	v_lshlrev_b64 v[0:1], 3, v[5:6]
	v_add_co_u32_e64 v72, s[0:1], v8, v0
	v_addc_co_u32_e64 v73, s[0:1], v9, v1, s[0:1]
	global_load_dwordx2 v[0:1], v[14:15], off
	global_load_dwordx2 v[8:9], v[37:38], off
	global_load_dwordx2 v[32:33], v[39:40], off
	global_load_dwordx2 v[16:17], v[41:42], off
	global_load_dwordx2 v[30:31], v[50:51], off
	global_load_dwordx2 v[6:7], v[52:53], off
	global_load_dwordx2 v[28:29], v[54:55], off
	global_load_dwordx2 v[12:13], v[56:57], off
	global_load_dwordx2 v[26:27], v[58:59], off
	global_load_dwordx2 v[4:5], v[60:61], off
	global_load_dwordx2 v[22:23], v[62:63], off
	global_load_dwordx2 v[10:11], v[64:65], off
	global_load_dwordx2 v[20:21], v[66:67], off
	global_load_dwordx2 v[2:3], v[68:69], off
	global_load_dwordx2 v[18:19], v[70:71], off
                                        ; kill: killed $vgpr66 killed $vgpr67
                                        ; kill: killed $vgpr37 killed $vgpr38
                                        ; kill: killed $vgpr56 killed $vgpr57
                                        ; kill: killed $vgpr68 killed $vgpr69
                                        ; kill: killed $vgpr39 killed $vgpr40
                                        ; kill: killed $vgpr58 killed $vgpr59
                                        ; kill: killed $vgpr70 killed $vgpr71
                                        ; kill: killed $vgpr41 killed $vgpr42
                                        ; kill: killed $vgpr60 killed $vgpr61
                                        ; kill: killed $vgpr50 killed $vgpr51
                                        ; kill: killed $vgpr62 killed $vgpr63
                                        ; kill: killed $vgpr52 killed $vgpr53
                                        ; kill: killed $vgpr64 killed $vgpr65
                                        ; kill: killed $vgpr14 killed $vgpr15
                                        ; kill: killed $vgpr54 killed $vgpr55
	global_load_dwordx2 v[14:15], v[72:73], off
	v_mov_b32_e32 v37, v47
	v_mov_b32_e32 v63, v49
	v_mov_b32_e32 v52, v44
	v_mov_b32_e32 v51, v45
	v_mov_b32_e32 v50, v48
.LBB0_8:
	s_or_b64 exec, exec, s[2:3]
	v_and_b32_e32 v34, 15, v34
	v_mul_u32_u24_e32 v34, 0xc0, v34
	v_lshlrev_b32_e32 v62, 3, v34
	s_waitcnt vmcnt(14)
	v_sub_f32_e32 v8, v0, v8
	v_sub_f32_e32 v9, v1, v9
	v_add_u32_e32 v40, 0, v62
	v_fma_f32 v0, v0, 2.0, -v8
	v_fma_f32 v1, v1, 2.0, -v9
	s_waitcnt vmcnt(12)
	v_sub_f32_e32 v16, v32, v16
	v_sub_f32_e32 v17, v33, v17
	v_lshl_add_u32 v34, v46, 4, v40
	v_fma_f32 v32, v32, 2.0, -v16
	v_fma_f32 v33, v33, 2.0, -v17
	s_waitcnt vmcnt(10)
	v_sub_f32_e32 v6, v30, v6
	v_sub_f32_e32 v7, v31, v7
	ds_write2_b64 v34, v[0:1], v[8:9] offset1:1
	v_lshl_add_u32 v0, v50, 4, v40
	v_fma_f32 v30, v30, 2.0, -v6
	v_fma_f32 v31, v31, 2.0, -v7
	s_waitcnt vmcnt(8)
	v_sub_f32_e32 v12, v28, v12
	v_sub_f32_e32 v13, v29, v13
	ds_write2_b64 v0, v[32:33], v[16:17] offset1:1
	;; [unrolled: 7-line block ×6, first 2 shown]
	v_lshl_add_u32 v0, v35, 4, v40
	v_fma_f32 v18, v18, 2.0, -v14
	v_fma_f32 v19, v19, 2.0, -v15
	ds_write2_b64 v0, v[20:21], v[2:3] offset1:1
	v_lshl_add_u32 v0, v36, 4, v40
	v_and_b32_e32 v41, 1, v46
	ds_write2_b64 v0, v[18:19], v[14:15] offset1:1
	v_lshlrev_b32_e32 v0, 3, v41
	s_waitcnt lgkmcnt(0)
	s_barrier
	global_load_dwordx2 v[12:13], v0, s[10:11]
	v_lshlrev_b32_e32 v0, 3, v46
	v_add3_u32 v55, 0, v0, v62
	v_add_u32_e32 v54, v40, v0
	v_add_u32_e32 v4, 0x400, v55
	v_lshl_add_u32 v56, v50, 3, v40
	v_lshl_add_u32 v57, v51, 3, v40
	;; [unrolled: 1-line block ×7, first 2 shown]
	ds_read_b64 v[8:9], v54
	ds_read2_b64 v[0:3], v55 offset0:96 offset1:108
	ds_read_b64 v[14:15], v57
	ds_read_b64 v[16:17], v56
	ds_read_b64 v[18:19], v55 offset:1344
	ds_read2_b32 v[20:21], v4 offset0:104 offset1:105
	ds_read_b64 v[22:23], v58
	ds_read_b64 v[26:27], v53
	;; [unrolled: 1-line block ×5, first 2 shown]
	ds_read2_b64 v[4:7], v55 offset0:120 offset1:132
	v_lshlrev_b32_e32 v30, 1, v46
	v_and_or_b32 v42, v30, 28, v41
	v_lshl_add_u32 v42, v42, 3, v40
	s_movk_i32 s0, 0x7c
	s_movk_i32 s1, 0xbc
	s_waitcnt vmcnt(0) lgkmcnt(10)
	v_mul_f32_e32 v10, v13, v1
	v_mul_f32_e32 v11, v13, v0
	v_fma_f32 v0, v12, v0, -v10
	v_fmac_f32_e32 v11, v12, v1
	v_sub_f32_e32 v0, v8, v0
	v_sub_f32_e32 v1, v9, v11
	v_fma_f32 v38, v8, 2.0, -v0
	v_fma_f32 v39, v9, 2.0, -v1
	ds_read2_b64 v[8:11], v55 offset0:144 offset1:156
	s_waitcnt lgkmcnt(0)
	s_barrier
	ds_write2_b64 v42, v[38:39], v[0:1] offset1:2
	v_mul_f32_e32 v0, v13, v3
	v_fma_f32 v0, v12, v2, -v0
	v_mul_f32_e32 v1, v13, v2
	v_sub_f32_e32 v0, v16, v0
	v_fmac_f32_e32 v1, v12, v3
	v_fma_f32 v2, v16, 2.0, -v0
	v_lshlrev_b32_e32 v16, 1, v50
	v_sub_f32_e32 v1, v17, v1
	v_and_or_b32 v16, v16, 60, v41
	v_fma_f32 v3, v17, 2.0, -v1
	v_lshl_add_u32 v16, v16, 3, v40
	ds_write2_b64 v16, v[2:3], v[0:1] offset1:2
	v_mul_f32_e32 v0, v13, v5
	v_mul_f32_e32 v1, v13, v4
	v_fma_f32 v0, v12, v4, -v0
	v_fmac_f32_e32 v1, v12, v5
	v_lshlrev_b32_e32 v4, 1, v51
	v_sub_f32_e32 v0, v14, v0
	v_sub_f32_e32 v1, v15, v1
	v_and_or_b32 v4, v4, s0, v41
	v_fma_f32 v2, v14, 2.0, -v0
	v_fma_f32 v3, v15, 2.0, -v1
	v_lshl_add_u32 v4, v4, 3, v40
	ds_write2_b64 v4, v[2:3], v[0:1] offset1:2
	v_mul_f32_e32 v2, v13, v9
	v_fma_f32 v4, v12, v8, -v2
	v_mul_f32_e32 v2, v13, v11
	v_mul_f32_e32 v0, v13, v7
	;; [unrolled: 1-line block ×4, first 2 shown]
	v_fma_f32 v8, v12, v10, -v2
	v_mul_f32_e32 v2, v13, v19
	v_fma_f32 v0, v12, v6, -v0
	v_fmac_f32_e32 v1, v12, v7
	v_fma_f32 v14, v12, v18, -v2
	v_mul_f32_e32 v15, v13, v18
	v_lshlrev_b32_e32 v18, 1, v52
	v_mul_f32_e32 v2, v21, v13
	v_sub_f32_e32 v0, v22, v0
	v_sub_f32_e32 v1, v23, v1
	v_and_or_b32 v18, v18, s0, v41
	v_fmac_f32_e32 v5, v12, v9
	v_fmac_f32_e32 v15, v12, v19
	v_fma_f32 v16, v12, v20, -v2
	v_fma_f32 v2, v22, 2.0, -v0
	v_fma_f32 v3, v23, 2.0, -v1
	v_lshlrev_b32_e32 v19, 1, v63
	v_lshl_add_u32 v18, v18, 3, v40
	v_mul_f32_e32 v9, v13, v10
	v_sub_f32_e32 v4, v26, v4
	v_sub_f32_e32 v5, v27, v5
	ds_write2_b64 v18, v[2:3], v[0:1] offset1:2
	v_and_or_b32 v0, v19, s0, v41
	v_fmac_f32_e32 v9, v12, v11
	v_mul_f32_e32 v17, v13, v20
	v_fma_f32 v6, v26, 2.0, -v4
	v_fma_f32 v7, v27, 2.0, -v5
	v_lshlrev_b32_e32 v20, 1, v37
	v_lshl_add_u32 v0, v0, 3, v40
	s_movk_i32 s0, 0xfc
	v_sub_f32_e32 v8, v28, v8
	v_sub_f32_e32 v9, v29, v9
	ds_write2_b64 v0, v[6:7], v[4:5] offset1:2
	v_and_or_b32 v0, v20, s0, v41
	v_fmac_f32_e32 v17, v21, v12
	v_fma_f32 v10, v28, 2.0, -v8
	v_fma_f32 v11, v29, 2.0, -v9
	v_lshlrev_b32_e32 v21, 1, v35
	v_lshl_add_u32 v0, v0, 3, v40
	v_sub_f32_e32 v12, v31, v14
	v_sub_f32_e32 v13, v32, v15
	ds_write2_b64 v0, v[10:11], v[8:9] offset1:2
	v_and_or_b32 v0, v21, s1, v41
	v_fma_f32 v14, v31, 2.0, -v12
	v_fma_f32 v15, v32, 2.0, -v13
	v_lshlrev_b32_e32 v22, 1, v36
	v_lshl_add_u32 v0, v0, 3, v40
	v_sub_f32_e32 v26, v33, v16
	v_sub_f32_e32 v27, v34, v17
	ds_write2_b64 v0, v[14:15], v[12:13] offset1:2
	v_and_or_b32 v0, v22, s0, v41
	v_fma_f32 v16, v33, 2.0, -v26
	v_fma_f32 v17, v34, 2.0, -v27
	v_lshl_add_u32 v0, v0, 3, v40
	ds_write2_b64 v0, v[16:17], v[26:27] offset1:2
	s_waitcnt lgkmcnt(0)
	s_barrier
	ds_read2_b64 v[20:23], v55 offset0:64 offset1:76
	ds_read2_b64 v[4:7], v55 offset0:112 offset1:128
	;; [unrolled: 1-line block ×4, first 2 shown]
	ds_read_b64 v[42:43], v54
	ds_read_b64 v[38:39], v56
	;; [unrolled: 1-line block ×5, first 2 shown]
	ds_read2_b64 v[8:11], v55 offset0:164 offset1:176
	v_cmp_gt_u16_e64 s[0:1], 4, v46
                                        ; implicit-def: $vgpr3
	s_and_saveexec_b64 s[2:3], s[0:1]
	s_cbranch_execz .LBB0_10
; %bb.9:
	ds_read_b64 v[26:27], v59
	ds_read2_b64 v[0:3], v55 offset0:124 offset1:188
.LBB0_10:
	s_or_b64 exec, exec, s[2:3]
	v_and_b32_e32 v30, 6, v30
	v_lshlrev_b32_e32 v64, 3, v30
	v_and_b32_e32 v65, 3, v46
	global_load_dwordx2 v[36:37], v64, s[10:11] offset:16
	global_load_dwordx2 v[30:31], v64, s[10:11] offset:24
	v_lshlrev_b32_e32 v66, 4, v65
	global_load_dword v67, v66, s[10:11] offset:16
	global_load_dwordx2 v[40:41], v64, s[10:11] offset:20
	s_waitcnt vmcnt(0) lgkmcnt(0)
	s_barrier
	v_mul_f32_e32 v66, v37, v21
	v_mul_f32_e32 v68, v37, v20
	;; [unrolled: 1-line block ×6, first 2 shown]
	v_fma_f32 v20, v67, v20, -v66
	v_mul_f32_e32 v66, v31, v19
	v_mul_f32_e32 v69, v31, v7
	v_mul_f32_e32 v73, v31, v17
	v_fmac_f32_e32 v68, v67, v21
	v_fma_f32 v21, v67, v22, -v71
	v_fmac_f32_e32 v72, v67, v23
	v_mul_f32_e32 v22, v37, v13
	v_mul_f32_e32 v23, v37, v12
	;; [unrolled: 1-line block ×3, first 2 shown]
	v_fmac_f32_e32 v74, v41, v17
	v_fma_f32 v17, v41, v18, -v66
	v_mul_f32_e32 v66, v31, v9
	v_fmac_f32_e32 v70, v41, v7
	v_fma_f32 v16, v41, v16, -v73
	v_fmac_f32_e32 v71, v41, v19
	v_mul_f32_e32 v18, v37, v15
	v_mul_f32_e32 v19, v37, v14
	;; [unrolled: 1-line block ×3, first 2 shown]
	v_fma_f32 v22, v67, v12, -v22
	v_fmac_f32_e32 v23, v67, v13
	v_mul_f32_e32 v12, v37, v5
	v_mul_f32_e32 v37, v37, v4
	;; [unrolled: 1-line block ×4, first 2 shown]
	v_fma_f32 v6, v41, v6, -v69
	v_fma_f32 v66, v41, v8, -v66
	v_add_f32_e32 v8, v68, v70
	v_fmac_f32_e32 v37, v67, v5
	v_fmac_f32_e32 v31, v41, v11
	v_add_f32_e32 v7, v20, v6
	v_add_f32_e32 v5, v43, v68
	;; [unrolled: 1-line block ×3, first 2 shown]
	v_fmac_f32_e32 v43, -0.5, v8
	v_fma_f32 v75, v67, v14, -v18
	v_fmac_f32_e32 v19, v67, v15
	v_fma_f32 v69, v67, v4, -v12
	v_fma_f32 v67, v41, v10, -v13
	v_add_f32_e32 v4, v42, v20
	v_sub_f32_e32 v15, v20, v6
	v_add_f32_e32 v10, v38, v21
	v_fma_f32 v42, -0.5, v7, v42
	v_fma_f32 v38, -0.5, v11, v38
	v_mov_b32_e32 v11, v43
	v_fmac_f32_e32 v73, v41, v9
	v_sub_f32_e32 v9, v68, v70
	v_add_f32_e32 v4, v4, v6
	v_add_f32_e32 v6, v10, v16
	v_mov_b32_e32 v10, v42
	v_fmac_f32_e32 v43, 0x3f5db3d7, v15
	v_fmac_f32_e32 v11, 0xbf5db3d7, v15
	v_add_f32_e32 v15, v23, v71
	v_add_f32_e32 v14, v34, v22
	v_fmac_f32_e32 v42, 0xbf5db3d7, v9
	v_fmac_f32_e32 v10, 0x3f5db3d7, v9
	v_add_f32_e32 v9, v35, v23
	v_fmac_f32_e32 v35, -0.5, v15
	v_add_f32_e32 v12, v39, v72
	v_sub_f32_e32 v20, v21, v16
	v_add_f32_e32 v21, v22, v17
	v_add_f32_e32 v8, v14, v17
	v_sub_f32_e32 v16, v22, v17
	v_mov_b32_e32 v15, v35
	v_add_f32_e32 v17, v75, v66
	v_sub_f32_e32 v18, v72, v74
	v_add_f32_e32 v7, v12, v74
	v_mov_b32_e32 v12, v38
	v_fmac_f32_e32 v15, 0xbf5db3d7, v16
	v_fmac_f32_e32 v35, 0x3f5db3d7, v16
	v_add_f32_e32 v16, v32, v75
	v_fma_f32 v32, -0.5, v17, v32
	v_add_f32_e32 v13, v72, v74
	v_fmac_f32_e32 v38, 0xbf5db3d7, v18
	v_fmac_f32_e32 v12, 0x3f5db3d7, v18
	v_sub_f32_e32 v17, v19, v73
	v_mov_b32_e32 v18, v32
	v_fmac_f32_e32 v39, -0.5, v13
	v_fmac_f32_e32 v18, 0x3f5db3d7, v17
	v_fmac_f32_e32 v32, 0xbf5db3d7, v17
	v_add_f32_e32 v17, v33, v19
	v_add_f32_e32 v19, v19, v73
	v_mov_b32_e32 v13, v39
	v_fmac_f32_e32 v33, -0.5, v19
	v_fma_f32 v34, -0.5, v21, v34
	v_fmac_f32_e32 v39, 0x3f5db3d7, v20
	v_fmac_f32_e32 v13, 0xbf5db3d7, v20
	v_sub_f32_e32 v20, v75, v66
	v_mov_b32_e32 v19, v33
	v_add_f32_e32 v21, v69, v67
	v_fmac_f32_e32 v19, 0xbf5db3d7, v20
	v_fmac_f32_e32 v33, 0x3f5db3d7, v20
	v_add_f32_e32 v20, v28, v69
	v_fma_f32 v28, -0.5, v21, v28
	v_sub_f32_e32 v41, v23, v71
	v_sub_f32_e32 v21, v37, v31
	v_mov_b32_e32 v22, v28
	v_add_f32_e32 v23, v37, v31
	v_fmac_f32_e32 v22, 0x3f5db3d7, v21
	v_fmac_f32_e32 v28, 0xbf5db3d7, v21
	v_add_f32_e32 v21, v29, v37
	v_fmac_f32_e32 v29, -0.5, v23
	v_add_f32_e32 v21, v21, v31
	v_sub_f32_e32 v31, v69, v67
	v_mov_b32_e32 v23, v29
	v_fmac_f32_e32 v23, 0xbf5db3d7, v31
	v_fmac_f32_e32 v29, 0x3f5db3d7, v31
	v_lshrrev_b32_e32 v31, 2, v46
	v_mul_u32_u24_e32 v31, 12, v31
	v_or_b32_e32 v31, v31, v65
	v_lshrrev_b32_e32 v37, 2, v50
	v_lshlrev_b32_e32 v31, 3, v31
	v_mul_lo_u32 v37, v37, 12
	v_add_f32_e32 v5, v5, v70
	v_add3_u32 v31, 0, v31, v62
	ds_write2_b64 v31, v[4:5], v[10:11] offset1:4
	ds_write_b64 v31, v[42:43] offset:64
	v_lshrrev_b32_e32 v5, 2, v51
	v_mul_lo_u32 v5, v5, 12
	v_or_b32_e32 v4, v37, v65
	v_lshlrev_b32_e32 v4, 3, v4
	v_add3_u32 v4, 0, v4, v62
	ds_write2_b64 v4, v[6:7], v[12:13] offset1:4
	ds_write_b64 v4, v[38:39] offset:64
	v_or_b32_e32 v4, v5, v65
	v_lshrrev_b32_e32 v5, 2, v52
	v_mul_lo_u32 v5, v5, 12
	v_mov_b32_e32 v14, v34
	v_lshlrev_b32_e32 v4, 3, v4
	v_fmac_f32_e32 v14, 0x3f5db3d7, v41
	v_add_f32_e32 v9, v9, v71
	v_add3_u32 v4, 0, v4, v62
	v_fmac_f32_e32 v34, 0xbf5db3d7, v41
	ds_write2_b64 v4, v[8:9], v[14:15] offset1:4
	ds_write_b64 v4, v[34:35] offset:64
	v_or_b32_e32 v4, v5, v65
	v_lshrrev_b32_e32 v5, 2, v63
	v_mul_lo_u32 v5, v5, 12
	v_lshlrev_b32_e32 v4, 3, v4
	v_add_f32_e32 v16, v16, v66
	v_add_f32_e32 v17, v17, v73
	v_add3_u32 v4, 0, v4, v62
	ds_write2_b64 v4, v[16:17], v[18:19] offset1:4
	ds_write_b64 v4, v[32:33] offset:64
	v_or_b32_e32 v4, v5, v65
	v_lshlrev_b32_e32 v4, 3, v4
	v_add_f32_e32 v20, v20, v67
	v_add3_u32 v4, 0, v4, v62
	ds_write2_b64 v4, v[20:21], v[22:23] offset1:4
	ds_write_b64 v4, v[28:29] offset:64
	s_and_saveexec_b64 s[2:3], s[0:1]
	s_cbranch_execz .LBB0_12
; %bb.11:
	v_mov_b32_e32 v5, s11
	v_add_co_u32_e64 v4, s[0:1], s10, v64
	v_addc_co_u32_e64 v5, s[0:1], 0, v5, s[0:1]
	global_load_dword v4, v[4:5], off offset:28
	v_mul_f32_e32 v5, v1, v40
	v_mul_f32_e32 v6, v0, v40
	v_fma_f32 v0, v0, v36, -v5
	v_fmac_f32_e32 v6, v1, v36
	v_add_f32_e32 v5, v26, v0
	v_add_f32_e32 v1, v27, v6
	s_waitcnt vmcnt(0)
	v_mul_f32_e32 v7, v3, v4
	v_mul_f32_e32 v4, v2, v4
	v_fma_f32 v2, v2, v30, -v7
	v_fmac_f32_e32 v4, v3, v30
	v_add_f32_e32 v3, v6, v4
	v_add_f32_e32 v8, v0, v2
	v_sub_f32_e32 v7, v0, v2
	v_sub_f32_e32 v6, v6, v4
	v_add_f32_e32 v0, v5, v2
	v_fma_f32 v3, -0.5, v3, v27
	v_fma_f32 v2, -0.5, v8, v26
	v_add_f32_e32 v1, v1, v4
	v_mov_b32_e32 v5, v3
	v_fmac_f32_e32 v3, 0xbf5db3d7, v7
	v_mov_b32_e32 v4, v2
	v_fmac_f32_e32 v2, 0x3f5db3d7, v6
	v_fmac_f32_e32 v5, 0x3f5db3d7, v7
	v_fmac_f32_e32 v4, 0xbf5db3d7, v6
	ds_write2_b64 v55, v[0:1], v[2:3] offset0:180 offset1:184
	ds_write_b64 v55, v[4:5] offset:1504
.LBB0_12:
	s_or_b64 exec, exec, s[2:3]
	v_mul_u32_u24_e32 v0, 3, v46
	v_lshlrev_b32_e32 v0, 3, v0
	s_waitcnt lgkmcnt(0)
	s_barrier
	ds_read_b64 v[17:18], v54
	ds_read_b64 v[19:20], v53
	ds_read_b64 v[21:22], v55 offset:768
	ds_read2_b64 v[1:4], v55 offset0:144 offset1:156
	ds_read_b64 v[26:27], v56
	ds_read_b64 v[28:29], v59
	ds_read2_b32 v[30:31], v55 offset0:216 offset1:217
	ds_read_b64 v[32:33], v57
	ds_read_b64 v[34:35], v60
	ds_read2_b64 v[5:8], v55 offset0:120 offset1:132
	ds_read2_b64 v[9:12], v55 offset0:168 offset1:180
	ds_read_b64 v[36:37], v58
	ds_read_b64 v[38:39], v61
	global_load_dwordx2 v[40:41], v0, s[10:11] offset:96
	global_load_dwordx4 v[13:16], v0, s[10:11] offset:80
	s_movk_i32 s0, 0xab
	s_waitcnt vmcnt(1) lgkmcnt(9)
	v_mul_f32_e32 v42, v41, v1
	s_waitcnt vmcnt(0)
	v_mul_f32_e32 v23, v14, v20
	v_fma_f32 v23, v13, v19, -v23
	v_mul_f32_e32 v19, v14, v19
	v_fmac_f32_e32 v19, v13, v20
	v_mul_f32_e32 v20, v16, v22
	v_fma_f32 v20, v15, v21, -v20
	v_mul_f32_e32 v21, v16, v21
	v_fmac_f32_e32 v21, v15, v22
	v_mul_f32_e32 v22, v41, v2
	v_fma_f32 v22, v40, v1, -v22
	s_waitcnt lgkmcnt(7)
	v_mul_f32_e32 v1, v14, v29
	v_fma_f32 v43, v13, v28, -v1
	v_mul_f32_e32 v28, v14, v28
	s_waitcnt lgkmcnt(6)
	v_mul_f32_e32 v1, v31, v16
	v_fmac_f32_e32 v28, v13, v29
	v_fma_f32 v29, v15, v30, -v1
	v_mul_f32_e32 v16, v16, v30
	v_mul_f32_e32 v1, v4, v41
	v_fmac_f32_e32 v16, v31, v15
	v_fma_f32 v15, v3, v40, -v1
	v_mul_lo_u16_sdwa v1, v51, s0 dst_sel:DWORD dst_unused:UNUSED_PAD src0_sel:BYTE_0 src1_sel:DWORD
	v_lshrrev_b16_e32 v1, 11, v1
	v_mul_f32_e32 v30, v3, v41
	v_mul_lo_u16_e32 v1, 12, v1
	v_fmac_f32_e32 v42, v40, v2
	v_fmac_f32_e32 v30, v4, v40
	v_sub_u16_e32 v40, v51, v1
	v_mov_b32_e32 v41, 3
	v_mul_u32_u24_sdwa v1, v40, v41 dst_sel:DWORD dst_unused:UNUSED_PAD src0_sel:BYTE_0 src1_sel:DWORD
	v_lshlrev_b32_e32 v31, 3, v1
	global_load_dwordx2 v[13:14], v31, s[10:11] offset:96
	global_load_dwordx4 v[1:4], v31, s[10:11] offset:80
	v_sub_f32_e32 v16, v27, v16
	s_waitcnt vmcnt(1) lgkmcnt(2)
	v_mul_f32_e32 v65, v9, v14
	s_waitcnt vmcnt(0)
	v_mul_f32_e32 v31, v35, v2
	v_fma_f32 v31, v34, v1, -v31
	v_mul_f32_e32 v34, v34, v2
	v_fmac_f32_e32 v34, v35, v1
	v_mul_f32_e32 v1, v6, v4
	v_fma_f32 v35, v5, v3, -v1
	v_mul_f32_e32 v1, v10, v14
	v_fma_f32 v64, v9, v13, -v1
	v_mul_lo_u16_sdwa v1, v52, s0 dst_sel:DWORD dst_unused:UNUSED_PAD src0_sel:BYTE_0 src1_sel:DWORD
	v_lshrrev_b16_e32 v1, 11, v1
	v_mul_lo_u16_e32 v1, 12, v1
	v_sub_u16_e32 v66, v52, v1
	v_mul_u32_u24_sdwa v1, v66, v41 dst_sel:DWORD dst_unused:UNUSED_PAD src0_sel:BYTE_0 src1_sel:DWORD
	v_mul_f32_e32 v63, v5, v4
	v_lshlrev_b32_e32 v9, 3, v1
	v_fmac_f32_e32 v63, v6, v3
	global_load_dwordx2 v[5:6], v9, s[10:11] offset:96
	global_load_dwordx4 v[1:4], v9, s[10:11] offset:80
	v_fmac_f32_e32 v65, v10, v13
	v_sub_f32_e32 v14, v43, v15
	v_sub_f32_e32 v13, v28, v30
	v_fma_f32 v10, v28, 2.0, -v13
	s_waitcnt vmcnt(0) lgkmcnt(0)
	s_barrier
	v_mul_f32_e32 v70, v11, v6
	v_mul_f32_e32 v9, v39, v2
	v_fma_f32 v67, v38, v1, -v9
	v_mul_f32_e32 v38, v38, v2
	v_fmac_f32_e32 v38, v39, v1
	v_mul_f32_e32 v1, v8, v4
	v_fma_f32 v39, v7, v3, -v1
	v_mul_f32_e32 v68, v7, v4
	v_mul_f32_e32 v1, v12, v6
	v_fmac_f32_e32 v68, v8, v3
	v_fma_f32 v69, v11, v5, -v1
	v_fmac_f32_e32 v70, v12, v5
	v_sub_f32_e32 v7, v17, v20
	v_sub_f32_e32 v8, v18, v21
	;; [unrolled: 1-line block ×4, first 2 shown]
	v_fma_f32 v3, v17, 2.0, -v7
	v_fma_f32 v4, v18, 2.0, -v8
	;; [unrolled: 1-line block ×4, first 2 shown]
	v_sub_f32_e32 v17, v26, v29
	v_sub_f32_e32 v1, v3, v1
	;; [unrolled: 1-line block ×4, first 2 shown]
	v_add_f32_e32 v6, v8, v6
	v_fma_f32 v11, v26, 2.0, -v17
	v_fma_f32 v12, v27, 2.0, -v16
	;; [unrolled: 1-line block ×3, first 2 shown]
	v_sub_f32_e32 v13, v17, v13
	v_sub_f32_e32 v23, v32, v35
	;; [unrolled: 1-line block ×5, first 2 shown]
	v_fma_f32 v3, v3, 2.0, -v1
	v_fma_f32 v4, v4, 2.0, -v2
	;; [unrolled: 1-line block ×4, first 2 shown]
	v_sub_f32_e32 v9, v11, v9
	v_sub_f32_e32 v10, v12, v10
	v_add_f32_e32 v14, v16, v14
	v_fma_f32 v15, v17, 2.0, -v13
	v_fma_f32 v19, v32, 2.0, -v23
	;; [unrolled: 1-line block ×5, first 2 shown]
	v_sub_f32_e32 v21, v23, v21
	v_fma_f32 v11, v11, 2.0, -v9
	v_fma_f32 v12, v12, 2.0, -v10
	;; [unrolled: 1-line block ×3, first 2 shown]
	v_sub_f32_e32 v17, v19, v17
	v_sub_f32_e32 v18, v20, v18
	v_add_f32_e32 v22, v27, v22
	v_fma_f32 v26, v23, 2.0, -v21
	v_sub_f32_e32 v23, v36, v39
	v_sub_f32_e32 v35, v37, v68
	;; [unrolled: 1-line block ×4, first 2 shown]
	ds_write2_b64 v55, v[3:4], v[7:8] offset1:12
	ds_write2_b64 v55, v[1:2], v[5:6] offset0:24 offset1:36
	ds_write_b64 v53, v[11:12]
	ds_write2_b64 v55, v[15:16], v[9:10] offset0:60 offset1:72
	ds_write_b64 v55, v[13:14] offset:672
	v_lshlrev_b32_sdwa v1, v41, v40 dst_sel:DWORD dst_unused:UNUSED_PAD src0_sel:DWORD src1_sel:BYTE_0
	v_fma_f32 v19, v19, 2.0, -v17
	v_fma_f32 v20, v20, 2.0, -v18
	;; [unrolled: 1-line block ×7, first 2 shown]
	v_add3_u32 v1, 0, v1, v62
	v_sub_f32_e32 v28, v30, v28
	v_sub_f32_e32 v29, v31, v29
	;; [unrolled: 1-line block ×3, first 2 shown]
	v_add_f32_e32 v33, v35, v33
	ds_write2_b64 v1, v[19:20], v[26:27] offset0:96 offset1:108
	ds_write2_b64 v1, v[17:18], v[21:22] offset0:120 offset1:132
	v_lshlrev_b32_sdwa v1, v41, v66 dst_sel:DWORD dst_unused:UNUSED_PAD src0_sel:DWORD src1_sel:BYTE_0
	v_fma_f32 v30, v30, 2.0, -v28
	v_fma_f32 v31, v31, 2.0, -v29
	;; [unrolled: 1-line block ×4, first 2 shown]
	v_add3_u32 v1, 0, v1, v62
	ds_write2_b64 v1, v[30:31], v[34:35] offset0:144 offset1:156
	ds_write2_b64 v1, v[28:29], v[32:33] offset0:168 offset1:180
	s_waitcnt lgkmcnt(0)
	s_barrier
	s_and_saveexec_b64 s[0:1], vcc
	s_cbranch_execz .LBB0_14
; %bb.13:
	v_mul_i32_i24_e32 v9, 3, v52
	v_mov_b32_e32 v10, 0
	v_lshlrev_b64 v[1:2], 3, v[9:10]
	v_mov_b32_e32 v23, s11
	v_add_co_u32_e32 v5, vcc, s10, v1
	v_addc_co_u32_e32 v6, vcc, v23, v2, vcc
	v_mul_i32_i24_e32 v9, 3, v51
	global_load_dwordx4 v[1:4], v[5:6], off offset:368
	global_load_dwordx2 v[21:22], v[5:6], off offset:384
	v_lshlrev_b64 v[5:6], 3, v[9:10]
	v_mul_i32_i24_e32 v9, 3, v50
	v_add_co_u32_e32 v11, vcc, s10, v5
	v_addc_co_u32_e32 v12, vcc, v23, v6, vcc
	global_load_dwordx4 v[5:8], v[11:12], off offset:368
	global_load_dwordx2 v[30:31], v[11:12], off offset:384
	v_lshlrev_b64 v[9:10], 3, v[9:10]
	s_mov_b32 s3, 0x5555556
	v_add_co_u32_e32 v13, vcc, s10, v9
	v_addc_co_u32_e32 v14, vcc, v23, v10, vcc
	global_load_dwordx4 v[9:12], v[13:14], off offset:368
	global_load_dwordx2 v[32:33], v[13:14], off offset:384
	v_add_co_u32_e32 v40, vcc, s10, v0
	v_addc_co_u32_e32 v41, vcc, 0, v23, vcc
	ds_read2_b64 v[13:16], v55 offset0:120 offset1:132
	ds_read2_b64 v[17:20], v55 offset0:168 offset1:180
	ds_read_b64 v[34:35], v61
	ds_read_b64 v[36:37], v60
	;; [unrolled: 1-line block ×3, first 2 shown]
	global_load_dwordx2 v[42:43], v[40:41], off offset:384
	global_load_dwordx4 v[26:29], v[40:41], off offset:368
	s_movk_i32 s2, 0x90
	s_waitcnt vmcnt(7) lgkmcnt(4)
	v_mul_f32_e32 v23, v3, v16
	s_waitcnt lgkmcnt(2)
	v_mul_f32_e32 v0, v2, v35
	s_waitcnt vmcnt(6)
	v_mul_f32_e32 v40, v22, v20
	v_mul_f32_e32 v16, v4, v16
	v_mul_f32_e32 v35, v1, v35
	v_mul_f32_e32 v20, v21, v20
	v_fmac_f32_e32 v23, v4, v15
	v_fma_f32 v4, v1, v34, -v0
	ds_read_b64 v[0:1], v58
	v_fma_f32 v3, v15, v3, -v16
	v_fmac_f32_e32 v35, v34, v2
	v_fmac_f32_e32 v20, v19, v22
	s_waitcnt vmcnt(5)
	v_mul_f32_e32 v2, v7, v14
	v_mul_f32_e32 v22, v8, v14
	ds_read_b64 v[14:15], v57
	v_fma_f32 v21, v21, v19, -v40
	s_waitcnt lgkmcnt(3)
	v_mul_f32_e32 v16, v6, v37
	v_mul_f32_e32 v34, v5, v37
	s_waitcnt vmcnt(4)
	v_mul_f32_e32 v37, v30, v18
	v_mul_f32_e32 v19, v31, v18
	s_waitcnt lgkmcnt(1)
	v_sub_f32_e32 v23, v1, v23
	v_sub_f32_e32 v18, v4, v21
	;; [unrolled: 1-line block ×4, first 2 shown]
	v_fmac_f32_e32 v2, v8, v13
	v_fmac_f32_e32 v34, v36, v6
	;; [unrolled: 1-line block ×3, first 2 shown]
	v_fma_f32 v5, v5, v36, -v16
	v_fma_f32 v8, v30, v17, -v19
	;; [unrolled: 1-line block ×3, first 2 shown]
	v_add_f32_e32 v17, v23, v18
	v_sub_f32_e32 v16, v3, v20
	v_fma_f32 v0, v0, 2.0, -v3
	v_fma_f32 v4, v4, 2.0, -v18
	ds_read_b64 v[18:19], v56
	s_waitcnt lgkmcnt(1)
	v_sub_f32_e32 v2, v15, v2
	v_sub_f32_e32 v13, v34, v37
	v_fma_f32 v1, v1, 2.0, -v23
	v_fma_f32 v6, v35, 2.0, -v20
	v_sub_f32_e32 v8, v5, v8
	v_fma_f32 v20, v3, 2.0, -v16
	v_sub_f32_e32 v22, v0, v4
	v_fma_f32 v3, v15, 2.0, -v2
	v_fma_f32 v4, v34, 2.0, -v13
	;; [unrolled: 1-line block ×3, first 2 shown]
	v_sub_f32_e32 v23, v1, v6
	v_add_f32_e32 v31, v2, v8
	v_sub_f32_e32 v15, v3, v4
	v_fma_f32 v35, v1, 2.0, -v23
	v_fma_f32 v34, v0, 2.0, -v22
	;; [unrolled: 1-line block ×4, first 2 shown]
	ds_read2_b64 v[0:3], v55 offset0:96 offset1:108
	v_sub_f32_e32 v7, v14, v7
	v_fma_f32 v4, v14, 2.0, -v7
	v_fma_f32 v5, v5, 2.0, -v8
	v_sub_f32_e32 v30, v7, v13
	v_sub_f32_e32 v14, v4, v5
	v_fma_f32 v36, v7, 2.0, -v30
	v_fma_f32 v40, v4, 2.0, -v14
	ds_read2_b64 v[4:7], v55 offset0:144 offset1:156
	ds_read_b64 v[50:51], v54
	s_waitcnt vmcnt(3) lgkmcnt(2)
	v_mul_f32_e32 v8, v11, v3
	v_fmac_f32_e32 v8, v12, v2
	v_sub_f32_e32 v54, v19, v8
	v_mul_f32_e32 v8, v10, v39
	v_mul_f32_e32 v3, v12, v3
	v_fma_f32 v55, v9, v38, -v8
	s_waitcnt vmcnt(2) lgkmcnt(1)
	v_mul_f32_e32 v8, v33, v7
	v_fma_f32 v2, v11, v2, -v3
	v_mul_f32_e32 v3, v9, v39
	v_mul_f32_e32 v7, v32, v7
	v_fmac_f32_e32 v3, v10, v38
	v_fmac_f32_e32 v7, v6, v33
	v_fma_f32 v8, v32, v6, -v8
	v_sub_f32_e32 v2, v18, v2
	v_sub_f32_e32 v6, v3, v7
	ds_read_b64 v[52:53], v53
	v_sub_f32_e32 v56, v55, v8
	v_sub_f32_e32 v7, v2, v6
	v_fma_f32 v12, v2, 2.0, -v7
	v_fma_f32 v9, v19, 2.0, -v54
	;; [unrolled: 1-line block ×5, first 2 shown]
	v_sub_f32_e32 v3, v9, v3
	v_sub_f32_e32 v2, v6, v2
	v_fma_f32 v10, v9, 2.0, -v3
	v_fma_f32 v9, v6, 2.0, -v2
	s_waitcnt vmcnt(0)
	v_mul_f32_e32 v6, v28, v1
	v_fmac_f32_e32 v6, v29, v0
	s_waitcnt lgkmcnt(1)
	v_sub_f32_e32 v11, v51, v6
	s_waitcnt lgkmcnt(0)
	v_mul_f32_e32 v6, v27, v53
	v_mul_f32_e32 v1, v29, v1
	v_fma_f32 v38, v26, v52, -v6
	v_mul_f32_e32 v6, v43, v5
	v_fma_f32 v0, v28, v0, -v1
	v_fma_f32 v6, v42, v4, -v6
	v_sub_f32_e32 v28, v50, v0
	v_mul_f32_e32 v0, v26, v53
	v_mul_f32_e32 v1, v42, v5
	v_sub_f32_e32 v39, v38, v6
	v_fmac_f32_e32 v0, v27, v52
	v_fmac_f32_e32 v1, v43, v4
	v_add_f32_e32 v6, v11, v39
	v_sub_f32_e32 v1, v0, v1
	v_fma_f32 v19, v11, 2.0, -v6
	v_sub_f32_e32 v5, v28, v1
	v_fma_f32 v4, v51, 2.0, -v11
	v_fma_f32 v11, v0, 2.0, -v1
	v_mad_u64_u32 v[0:1], s[0:1], s6, v46, 0
	v_sub_f32_e32 v27, v4, v11
	v_fma_f32 v29, v4, 2.0, -v27
	v_fma_f32 v4, v50, 2.0, -v28
	v_mad_u64_u32 v[32:33], s[0:1], s7, v46, v[1:2]
	v_fma_f32 v1, v38, 2.0, -v39
	v_sub_f32_e32 v26, v4, v1
	v_fma_f32 v18, v28, 2.0, -v5
	v_fma_f32 v28, v4, 2.0, -v26
	v_mov_b32_e32 v4, s9
	v_add_co_u32_e32 v11, vcc, s8, v24
	v_addc_co_u32_e32 v42, vcc, v4, v25, vcc
	v_mad_u64_u32 v[24:25], s[0:1], s6, v49, 0
	v_mov_b32_e32 v1, v32
	v_lshlrev_b64 v[0:1], 3, v[0:1]
	v_mov_b32_e32 v4, v25
	v_mad_u64_u32 v[32:33], s[0:1], s7, v49, v[4:5]
	v_or_b32_e32 v33, 0x60, v46
	v_mad_u64_u32 v[38:39], s[0:1], s6, v33, 0
	v_add_co_u32_e32 v0, vcc, v11, v0
	v_addc_co_u32_e32 v1, vcc, v42, v1, vcc
	v_mov_b32_e32 v25, v32
	v_mov_b32_e32 v4, v39
	global_store_dwordx2 v[0:1], v[28:29], off
	v_lshlrev_b64 v[0:1], 3, v[24:25]
	v_mad_u64_u32 v[24:25], s[0:1], s7, v33, v[4:5]
	v_add_co_u32_e32 v0, vcc, v11, v0
	v_addc_co_u32_e32 v1, vcc, v42, v1, vcc
	v_mov_b32_e32 v39, v24
	v_or_b32_e32 v4, 0x90, v46
	global_store_dwordx2 v[0:1], v[18:19], off
	v_lshlrev_b64 v[0:1], 3, v[38:39]
	v_mad_u64_u32 v[18:19], s[0:1], s6, v4, 0
	v_add_co_u32_e32 v0, vcc, v11, v0
	v_addc_co_u32_e32 v1, vcc, v42, v1, vcc
	global_store_dwordx2 v[0:1], v[26:27], off
	v_mov_b32_e32 v0, v19
	v_mad_u64_u32 v[0:1], s[0:1], s7, v4, v[0:1]
	v_mad_u64_u32 v[24:25], s[0:1], s6, v48, 0
	v_mov_b32_e32 v19, v0
	v_lshlrev_b64 v[0:1], 3, v[18:19]
	v_mov_b32_e32 v4, v25
	v_add_co_u32_e32 v0, vcc, v11, v0
	v_addc_co_u32_e32 v1, vcc, v42, v1, vcc
	v_mad_u64_u32 v[18:19], s[0:1], s7, v48, v[4:5]
	global_store_dwordx2 v[0:1], v[5:6], off
	v_mad_u64_u32 v[4:5], s[0:1], s6, v47, 0
	v_mov_b32_e32 v25, v18
	v_lshlrev_b64 v[0:1], 3, v[24:25]
	v_mad_u64_u32 v[5:6], s[0:1], s7, v47, v[5:6]
	v_add_u32_e32 v6, 0x6c, v46
	v_mad_u64_u32 v[18:19], s[0:1], s6, v6, 0
	v_add_co_u32_e32 v0, vcc, v11, v0
	v_addc_co_u32_e32 v1, vcc, v42, v1, vcc
	global_store_dwordx2 v[0:1], v[9:10], off
	v_lshlrev_b64 v[0:1], 3, v[4:5]
	v_mov_b32_e32 v4, v19
	v_mad_u64_u32 v[4:5], s[0:1], s7, v6, v[4:5]
	v_add_u32_e32 v6, 0x9c, v46
	v_add_f32_e32 v8, v54, v56
	v_mov_b32_e32 v19, v4
	v_mad_u64_u32 v[4:5], s[0:1], s6, v6, 0
	v_add_co_u32_e32 v0, vcc, v11, v0
	v_mad_u64_u32 v[5:6], s[0:1], s7, v6, v[5:6]
	v_fma_f32 v13, v54, 2.0, -v8
	v_addc_co_u32_e32 v1, vcc, v42, v1, vcc
	v_mul_hi_u32 v6, v45, s3
	global_store_dwordx2 v[0:1], v[12:13], off
	v_lshlrev_b64 v[0:1], 3, v[18:19]
	v_add_co_u32_e32 v0, vcc, v11, v0
	v_addc_co_u32_e32 v1, vcc, v42, v1, vcc
	v_mad_u32_u24 v6, v6, s2, v45
	global_store_dwordx2 v[0:1], v[2:3], off
	v_mad_u64_u32 v[2:3], s[0:1], s6, v6, 0
	v_lshlrev_b64 v[0:1], 3, v[4:5]
	v_add_u32_e32 v9, 48, v6
	v_mad_u64_u32 v[3:4], s[0:1], s7, v6, v[3:4]
	v_mad_u64_u32 v[4:5], s[0:1], s6, v9, 0
	v_add_co_u32_e32 v0, vcc, v11, v0
	v_addc_co_u32_e32 v1, vcc, v42, v1, vcc
	global_store_dwordx2 v[0:1], v[7:8], off
	v_lshlrev_b64 v[0:1], 3, v[2:3]
	v_mov_b32_e32 v2, v5
	v_mad_u64_u32 v[2:3], s[0:1], s7, v9, v[2:3]
	v_add_co_u32_e32 v0, vcc, v11, v0
	v_addc_co_u32_e32 v1, vcc, v42, v1, vcc
	v_mov_b32_e32 v5, v2
	global_store_dwordx2 v[0:1], v[40:41], off
	v_lshlrev_b64 v[0:1], 3, v[4:5]
	v_add_u32_e32 v4, 0x60, v6
	v_mad_u64_u32 v[2:3], s[0:1], s6, v4, 0
	v_add_u32_e32 v6, 0x90, v6
	v_add_co_u32_e32 v0, vcc, v11, v0
	v_mad_u64_u32 v[3:4], s[0:1], s7, v4, v[3:4]
	v_mad_u64_u32 v[4:5], s[0:1], s6, v6, 0
	v_addc_co_u32_e32 v1, vcc, v42, v1, vcc
	global_store_dwordx2 v[0:1], v[36:37], off
	v_lshlrev_b64 v[0:1], 3, v[2:3]
	v_mov_b32_e32 v2, v5
	v_mad_u64_u32 v[2:3], s[0:1], s7, v6, v[2:3]
	v_mul_hi_u32 v3, v44, s3
	v_add_co_u32_e32 v0, vcc, v11, v0
	v_mov_b32_e32 v5, v2
	v_mad_u32_u24 v6, v3, s2, v44
	v_mad_u64_u32 v[2:3], s[0:1], s6, v6, 0
	v_addc_co_u32_e32 v1, vcc, v42, v1, vcc
	global_store_dwordx2 v[0:1], v[14:15], off
	v_lshlrev_b64 v[0:1], 3, v[4:5]
	v_mad_u64_u32 v[3:4], s[0:1], s7, v6, v[3:4]
	v_add_u32_e32 v7, 48, v6
	v_mad_u64_u32 v[4:5], s[0:1], s6, v7, 0
	v_add_co_u32_e32 v0, vcc, v11, v0
	v_addc_co_u32_e32 v1, vcc, v42, v1, vcc
	global_store_dwordx2 v[0:1], v[30:31], off
	v_lshlrev_b64 v[0:1], 3, v[2:3]
	v_mov_b32_e32 v2, v5
	v_mad_u64_u32 v[2:3], s[0:1], s7, v7, v[2:3]
	v_add_co_u32_e32 v0, vcc, v11, v0
	v_addc_co_u32_e32 v1, vcc, v42, v1, vcc
	v_mov_b32_e32 v5, v2
	global_store_dwordx2 v[0:1], v[34:35], off
	v_lshlrev_b64 v[0:1], 3, v[4:5]
	v_add_u32_e32 v4, 0x60, v6
	v_mad_u64_u32 v[2:3], s[0:1], s6, v4, 0
	v_add_u32_e32 v6, 0x90, v6
	v_add_co_u32_e32 v0, vcc, v11, v0
	v_mad_u64_u32 v[3:4], s[0:1], s7, v4, v[3:4]
	v_mad_u64_u32 v[4:5], s[0:1], s6, v6, 0
	v_addc_co_u32_e32 v1, vcc, v42, v1, vcc
	global_store_dwordx2 v[0:1], v[20:21], off
	v_lshlrev_b64 v[0:1], 3, v[2:3]
	v_mov_b32_e32 v2, v5
	v_mad_u64_u32 v[2:3], s[0:1], s7, v6, v[2:3]
	v_add_co_u32_e32 v0, vcc, v11, v0
	v_addc_co_u32_e32 v1, vcc, v42, v1, vcc
	v_mov_b32_e32 v5, v2
	global_store_dwordx2 v[0:1], v[22:23], off
	v_lshlrev_b64 v[0:1], 3, v[4:5]
	v_add_co_u32_e32 v0, vcc, v11, v0
	v_addc_co_u32_e32 v1, vcc, v42, v1, vcc
	global_store_dwordx2 v[0:1], v[16:17], off
.LBB0_14:
	s_endpgm
	.section	.rodata,"a",@progbits
	.p2align	6, 0x0
	.amdhsa_kernel fft_rtc_fwd_len192_factors_2_2_3_4_4_wgs_192_tpt_12_dim3_sp_ip_CI_sbrr_dirReg
		.amdhsa_group_segment_fixed_size 0
		.amdhsa_private_segment_fixed_size 0
		.amdhsa_kernarg_size 80
		.amdhsa_user_sgpr_count 6
		.amdhsa_user_sgpr_private_segment_buffer 1
		.amdhsa_user_sgpr_dispatch_ptr 0
		.amdhsa_user_sgpr_queue_ptr 0
		.amdhsa_user_sgpr_kernarg_segment_ptr 1
		.amdhsa_user_sgpr_dispatch_id 0
		.amdhsa_user_sgpr_flat_scratch_init 0
		.amdhsa_user_sgpr_private_segment_size 0
		.amdhsa_uses_dynamic_stack 0
		.amdhsa_system_sgpr_private_segment_wavefront_offset 0
		.amdhsa_system_sgpr_workgroup_id_x 1
		.amdhsa_system_sgpr_workgroup_id_y 0
		.amdhsa_system_sgpr_workgroup_id_z 0
		.amdhsa_system_sgpr_workgroup_info 0
		.amdhsa_system_vgpr_workitem_id 0
		.amdhsa_next_free_vgpr 76
		.amdhsa_next_free_sgpr 16
		.amdhsa_reserve_vcc 1
		.amdhsa_reserve_flat_scratch 0
		.amdhsa_float_round_mode_32 0
		.amdhsa_float_round_mode_16_64 0
		.amdhsa_float_denorm_mode_32 3
		.amdhsa_float_denorm_mode_16_64 3
		.amdhsa_dx10_clamp 1
		.amdhsa_ieee_mode 1
		.amdhsa_fp16_overflow 0
		.amdhsa_exception_fp_ieee_invalid_op 0
		.amdhsa_exception_fp_denorm_src 0
		.amdhsa_exception_fp_ieee_div_zero 0
		.amdhsa_exception_fp_ieee_overflow 0
		.amdhsa_exception_fp_ieee_underflow 0
		.amdhsa_exception_fp_ieee_inexact 0
		.amdhsa_exception_int_div_zero 0
	.end_amdhsa_kernel
	.text
.Lfunc_end0:
	.size	fft_rtc_fwd_len192_factors_2_2_3_4_4_wgs_192_tpt_12_dim3_sp_ip_CI_sbrr_dirReg, .Lfunc_end0-fft_rtc_fwd_len192_factors_2_2_3_4_4_wgs_192_tpt_12_dim3_sp_ip_CI_sbrr_dirReg
                                        ; -- End function
	.section	.AMDGPU.csdata,"",@progbits
; Kernel info:
; codeLenInByte = 6836
; NumSgprs: 20
; NumVgprs: 76
; ScratchSize: 0
; MemoryBound: 0
; FloatMode: 240
; IeeeMode: 1
; LDSByteSize: 0 bytes/workgroup (compile time only)
; SGPRBlocks: 2
; VGPRBlocks: 18
; NumSGPRsForWavesPerEU: 20
; NumVGPRsForWavesPerEU: 76
; Occupancy: 3
; WaveLimiterHint : 1
; COMPUTE_PGM_RSRC2:SCRATCH_EN: 0
; COMPUTE_PGM_RSRC2:USER_SGPR: 6
; COMPUTE_PGM_RSRC2:TRAP_HANDLER: 0
; COMPUTE_PGM_RSRC2:TGID_X_EN: 1
; COMPUTE_PGM_RSRC2:TGID_Y_EN: 0
; COMPUTE_PGM_RSRC2:TGID_Z_EN: 0
; COMPUTE_PGM_RSRC2:TIDIG_COMP_CNT: 0
	.type	__hip_cuid_5139bb8cb0fde3fb,@object ; @__hip_cuid_5139bb8cb0fde3fb
	.section	.bss,"aw",@nobits
	.globl	__hip_cuid_5139bb8cb0fde3fb
__hip_cuid_5139bb8cb0fde3fb:
	.byte	0                               ; 0x0
	.size	__hip_cuid_5139bb8cb0fde3fb, 1

	.ident	"AMD clang version 19.0.0git (https://github.com/RadeonOpenCompute/llvm-project roc-6.4.0 25133 c7fe45cf4b819c5991fe208aaa96edf142730f1d)"
	.section	".note.GNU-stack","",@progbits
	.addrsig
	.addrsig_sym __hip_cuid_5139bb8cb0fde3fb
	.amdgpu_metadata
---
amdhsa.kernels:
  - .args:
      - .actual_access:  read_only
        .address_space:  global
        .offset:         0
        .size:           8
        .value_kind:     global_buffer
      - .actual_access:  read_only
        .address_space:  global
        .offset:         8
        .size:           8
        .value_kind:     global_buffer
      - .actual_access:  read_only
        .address_space:  global
        .offset:         16
        .size:           8
        .value_kind:     global_buffer
      - .offset:         24
        .size:           8
        .value_kind:     by_value
      - .actual_access:  read_only
        .address_space:  global
        .offset:         32
        .size:           8
        .value_kind:     global_buffer
      - .actual_access:  read_only
        .address_space:  global
        .offset:         40
        .size:           8
        .value_kind:     global_buffer
      - .offset:         48
        .size:           4
        .value_kind:     by_value
      - .actual_access:  read_only
        .address_space:  global
        .offset:         56
        .size:           8
        .value_kind:     global_buffer
      - .actual_access:  read_only
        .address_space:  global
        .offset:         64
        .size:           8
        .value_kind:     global_buffer
      - .address_space:  global
        .offset:         72
        .size:           8
        .value_kind:     global_buffer
    .group_segment_fixed_size: 0
    .kernarg_segment_align: 8
    .kernarg_segment_size: 80
    .language:       OpenCL C
    .language_version:
      - 2
      - 0
    .max_flat_workgroup_size: 192
    .name:           fft_rtc_fwd_len192_factors_2_2_3_4_4_wgs_192_tpt_12_dim3_sp_ip_CI_sbrr_dirReg
    .private_segment_fixed_size: 0
    .sgpr_count:     20
    .sgpr_spill_count: 0
    .symbol:         fft_rtc_fwd_len192_factors_2_2_3_4_4_wgs_192_tpt_12_dim3_sp_ip_CI_sbrr_dirReg.kd
    .uniform_work_group_size: 1
    .uses_dynamic_stack: false
    .vgpr_count:     76
    .vgpr_spill_count: 0
    .wavefront_size: 64
amdhsa.target:   amdgcn-amd-amdhsa--gfx906
amdhsa.version:
  - 1
  - 2
...

	.end_amdgpu_metadata
